;; amdgpu-corpus repo=ROCm/rocFFT kind=compiled arch=gfx1201 opt=O3
	.text
	.amdgcn_target "amdgcn-amd-amdhsa--gfx1201"
	.amdhsa_code_object_version 6
	.protected	fft_rtc_back_len1225_factors_5_5_7_7_wgs_175_tpt_175_halfLds_sp_op_CI_CI_unitstride_sbrr_dirReg ; -- Begin function fft_rtc_back_len1225_factors_5_5_7_7_wgs_175_tpt_175_halfLds_sp_op_CI_CI_unitstride_sbrr_dirReg
	.globl	fft_rtc_back_len1225_factors_5_5_7_7_wgs_175_tpt_175_halfLds_sp_op_CI_CI_unitstride_sbrr_dirReg
	.p2align	8
	.type	fft_rtc_back_len1225_factors_5_5_7_7_wgs_175_tpt_175_halfLds_sp_op_CI_CI_unitstride_sbrr_dirReg,@function
fft_rtc_back_len1225_factors_5_5_7_7_wgs_175_tpt_175_halfLds_sp_op_CI_CI_unitstride_sbrr_dirReg: ; @fft_rtc_back_len1225_factors_5_5_7_7_wgs_175_tpt_175_halfLds_sp_op_CI_CI_unitstride_sbrr_dirReg
; %bb.0:
	s_clause 0x2
	s_load_b128 s[8:11], s[0:1], 0x0
	s_load_b128 s[4:7], s[0:1], 0x58
	;; [unrolled: 1-line block ×3, first 2 shown]
	v_mul_u32_u24_e32 v1, 0x177, v0
	v_mov_b32_e32 v8, 0
	v_mov_b32_e32 v9, 0
	s_delay_alu instid0(VALU_DEP_3) | instskip(NEXT) | instid1(VALU_DEP_1)
	v_lshrrev_b32_e32 v1, 16, v1
	v_dual_mov_b32 v5, 0 :: v_dual_add_nc_u32 v10, ttmp9, v1
	s_delay_alu instid0(VALU_DEP_1) | instskip(SKIP_2) | instid1(VALU_DEP_1)
	v_mov_b32_e32 v11, v5
	s_wait_kmcnt 0x0
	v_cmp_lt_u64_e64 s2, s[10:11], 2
	s_and_b32 vcc_lo, exec_lo, s2
	s_cbranch_vccnz .LBB0_8
; %bb.1:
	s_load_b64 s[2:3], s[0:1], 0x10
	v_mov_b32_e32 v8, 0
	v_mov_b32_e32 v9, 0
	s_delay_alu instid0(VALU_DEP_2)
	v_mov_b32_e32 v1, v8
	s_add_nc_u64 s[16:17], s[14:15], 8
	s_add_nc_u64 s[18:19], s[12:13], 8
	s_mov_b64 s[20:21], 1
	v_mov_b32_e32 v2, v9
	s_wait_kmcnt 0x0
	s_add_nc_u64 s[22:23], s[2:3], 8
	s_mov_b32 s3, 0
.LBB0_2:                                ; =>This Inner Loop Header: Depth=1
	s_load_b64 s[24:25], s[22:23], 0x0
                                        ; implicit-def: $vgpr3_vgpr4
	s_mov_b32 s2, exec_lo
	s_wait_kmcnt 0x0
	v_or_b32_e32 v6, s25, v11
	s_delay_alu instid0(VALU_DEP_1)
	v_cmpx_ne_u64_e32 0, v[5:6]
	s_wait_alu 0xfffe
	s_xor_b32 s26, exec_lo, s2
	s_cbranch_execz .LBB0_4
; %bb.3:                                ;   in Loop: Header=BB0_2 Depth=1
	s_cvt_f32_u32 s2, s24
	s_cvt_f32_u32 s27, s25
	s_sub_nc_u64 s[30:31], 0, s[24:25]
	s_wait_alu 0xfffe
	s_delay_alu instid0(SALU_CYCLE_1) | instskip(SKIP_1) | instid1(SALU_CYCLE_2)
	s_fmamk_f32 s2, s27, 0x4f800000, s2
	s_wait_alu 0xfffe
	v_s_rcp_f32 s2, s2
	s_delay_alu instid0(TRANS32_DEP_1) | instskip(SKIP_1) | instid1(SALU_CYCLE_2)
	s_mul_f32 s2, s2, 0x5f7ffffc
	s_wait_alu 0xfffe
	s_mul_f32 s27, s2, 0x2f800000
	s_wait_alu 0xfffe
	s_delay_alu instid0(SALU_CYCLE_2) | instskip(SKIP_1) | instid1(SALU_CYCLE_2)
	s_trunc_f32 s27, s27
	s_wait_alu 0xfffe
	s_fmamk_f32 s2, s27, 0xcf800000, s2
	s_cvt_u32_f32 s29, s27
	s_wait_alu 0xfffe
	s_delay_alu instid0(SALU_CYCLE_1) | instskip(SKIP_1) | instid1(SALU_CYCLE_2)
	s_cvt_u32_f32 s28, s2
	s_wait_alu 0xfffe
	s_mul_u64 s[34:35], s[30:31], s[28:29]
	s_wait_alu 0xfffe
	s_mul_hi_u32 s37, s28, s35
	s_mul_i32 s36, s28, s35
	s_mul_hi_u32 s2, s28, s34
	s_mul_i32 s33, s29, s34
	s_wait_alu 0xfffe
	s_add_nc_u64 s[36:37], s[2:3], s[36:37]
	s_mul_hi_u32 s27, s29, s34
	s_mul_hi_u32 s38, s29, s35
	s_add_co_u32 s2, s36, s33
	s_wait_alu 0xfffe
	s_add_co_ci_u32 s2, s37, s27
	s_mul_i32 s34, s29, s35
	s_add_co_ci_u32 s35, s38, 0
	s_wait_alu 0xfffe
	s_add_nc_u64 s[34:35], s[2:3], s[34:35]
	s_wait_alu 0xfffe
	v_add_co_u32 v3, s2, s28, s34
	s_delay_alu instid0(VALU_DEP_1) | instskip(SKIP_1) | instid1(VALU_DEP_1)
	s_cmp_lg_u32 s2, 0
	s_add_co_ci_u32 s29, s29, s35
	v_readfirstlane_b32 s28, v3
	s_wait_alu 0xfffe
	s_delay_alu instid0(VALU_DEP_1)
	s_mul_u64 s[30:31], s[30:31], s[28:29]
	s_wait_alu 0xfffe
	s_mul_hi_u32 s35, s28, s31
	s_mul_i32 s34, s28, s31
	s_mul_hi_u32 s2, s28, s30
	s_mul_i32 s33, s29, s30
	s_wait_alu 0xfffe
	s_add_nc_u64 s[34:35], s[2:3], s[34:35]
	s_mul_hi_u32 s27, s29, s30
	s_mul_hi_u32 s28, s29, s31
	s_wait_alu 0xfffe
	s_add_co_u32 s2, s34, s33
	s_add_co_ci_u32 s2, s35, s27
	s_mul_i32 s30, s29, s31
	s_add_co_ci_u32 s31, s28, 0
	s_wait_alu 0xfffe
	s_add_nc_u64 s[30:31], s[2:3], s[30:31]
	s_wait_alu 0xfffe
	v_add_co_u32 v6, s2, v3, s30
	s_delay_alu instid0(VALU_DEP_1) | instskip(SKIP_1) | instid1(VALU_DEP_1)
	s_cmp_lg_u32 s2, 0
	s_add_co_ci_u32 s2, s29, s31
	v_mul_hi_u32 v14, v10, v6
	s_wait_alu 0xfffe
	v_mad_co_u64_u32 v[3:4], null, v10, s2, 0
	v_mad_co_u64_u32 v[6:7], null, v11, v6, 0
	;; [unrolled: 1-line block ×3, first 2 shown]
	s_delay_alu instid0(VALU_DEP_3) | instskip(SKIP_1) | instid1(VALU_DEP_4)
	v_add_co_u32 v3, vcc_lo, v14, v3
	s_wait_alu 0xfffd
	v_add_co_ci_u32_e32 v4, vcc_lo, 0, v4, vcc_lo
	s_delay_alu instid0(VALU_DEP_2) | instskip(SKIP_1) | instid1(VALU_DEP_2)
	v_add_co_u32 v3, vcc_lo, v3, v6
	s_wait_alu 0xfffd
	v_add_co_ci_u32_e32 v3, vcc_lo, v4, v7, vcc_lo
	s_wait_alu 0xfffd
	v_add_co_ci_u32_e32 v4, vcc_lo, 0, v13, vcc_lo
	s_delay_alu instid0(VALU_DEP_2) | instskip(SKIP_1) | instid1(VALU_DEP_2)
	v_add_co_u32 v6, vcc_lo, v3, v12
	s_wait_alu 0xfffd
	v_add_co_ci_u32_e32 v7, vcc_lo, 0, v4, vcc_lo
	s_delay_alu instid0(VALU_DEP_2) | instskip(SKIP_1) | instid1(VALU_DEP_3)
	v_mul_lo_u32 v12, s25, v6
	v_mad_co_u64_u32 v[3:4], null, s24, v6, 0
	v_mul_lo_u32 v13, s24, v7
	s_delay_alu instid0(VALU_DEP_2) | instskip(NEXT) | instid1(VALU_DEP_2)
	v_sub_co_u32 v3, vcc_lo, v10, v3
	v_add3_u32 v4, v4, v13, v12
	s_delay_alu instid0(VALU_DEP_1) | instskip(SKIP_1) | instid1(VALU_DEP_1)
	v_sub_nc_u32_e32 v12, v11, v4
	s_wait_alu 0xfffd
	v_subrev_co_ci_u32_e64 v12, s2, s25, v12, vcc_lo
	v_add_co_u32 v13, s2, v6, 2
	s_wait_alu 0xf1ff
	v_add_co_ci_u32_e64 v14, s2, 0, v7, s2
	v_sub_co_u32 v15, s2, v3, s24
	v_sub_co_ci_u32_e32 v4, vcc_lo, v11, v4, vcc_lo
	s_wait_alu 0xf1ff
	v_subrev_co_ci_u32_e64 v12, s2, 0, v12, s2
	s_delay_alu instid0(VALU_DEP_3) | instskip(NEXT) | instid1(VALU_DEP_3)
	v_cmp_le_u32_e32 vcc_lo, s24, v15
	v_cmp_eq_u32_e64 s2, s25, v4
	s_wait_alu 0xfffd
	v_cndmask_b32_e64 v15, 0, -1, vcc_lo
	v_cmp_le_u32_e32 vcc_lo, s25, v12
	s_wait_alu 0xfffd
	v_cndmask_b32_e64 v16, 0, -1, vcc_lo
	v_cmp_le_u32_e32 vcc_lo, s24, v3
	;; [unrolled: 3-line block ×3, first 2 shown]
	s_wait_alu 0xfffd
	v_cndmask_b32_e64 v17, 0, -1, vcc_lo
	v_cmp_eq_u32_e32 vcc_lo, s25, v12
	s_wait_alu 0xf1ff
	s_delay_alu instid0(VALU_DEP_2)
	v_cndmask_b32_e64 v3, v17, v3, s2
	s_wait_alu 0xfffd
	v_cndmask_b32_e32 v12, v16, v15, vcc_lo
	v_add_co_u32 v15, vcc_lo, v6, 1
	s_wait_alu 0xfffd
	v_add_co_ci_u32_e32 v16, vcc_lo, 0, v7, vcc_lo
	s_delay_alu instid0(VALU_DEP_3) | instskip(SKIP_2) | instid1(VALU_DEP_3)
	v_cmp_ne_u32_e32 vcc_lo, 0, v12
	s_wait_alu 0xfffd
	v_cndmask_b32_e32 v12, v15, v13, vcc_lo
	v_cndmask_b32_e32 v4, v16, v14, vcc_lo
	v_cmp_ne_u32_e32 vcc_lo, 0, v3
	s_wait_alu 0xfffd
	s_delay_alu instid0(VALU_DEP_3) | instskip(NEXT) | instid1(VALU_DEP_3)
	v_cndmask_b32_e32 v3, v6, v12, vcc_lo
	v_cndmask_b32_e32 v4, v7, v4, vcc_lo
.LBB0_4:                                ;   in Loop: Header=BB0_2 Depth=1
	s_wait_alu 0xfffe
	s_and_not1_saveexec_b32 s2, s26
	s_cbranch_execz .LBB0_6
; %bb.5:                                ;   in Loop: Header=BB0_2 Depth=1
	v_cvt_f32_u32_e32 v3, s24
	s_sub_co_i32 s26, 0, s24
	s_delay_alu instid0(VALU_DEP_1) | instskip(NEXT) | instid1(TRANS32_DEP_1)
	v_rcp_iflag_f32_e32 v3, v3
	v_mul_f32_e32 v3, 0x4f7ffffe, v3
	s_delay_alu instid0(VALU_DEP_1) | instskip(SKIP_1) | instid1(VALU_DEP_1)
	v_cvt_u32_f32_e32 v3, v3
	s_wait_alu 0xfffe
	v_mul_lo_u32 v4, s26, v3
	s_delay_alu instid0(VALU_DEP_1) | instskip(NEXT) | instid1(VALU_DEP_1)
	v_mul_hi_u32 v4, v3, v4
	v_add_nc_u32_e32 v3, v3, v4
	s_delay_alu instid0(VALU_DEP_1) | instskip(NEXT) | instid1(VALU_DEP_1)
	v_mul_hi_u32 v3, v10, v3
	v_mul_lo_u32 v4, v3, s24
	v_add_nc_u32_e32 v6, 1, v3
	s_delay_alu instid0(VALU_DEP_2) | instskip(NEXT) | instid1(VALU_DEP_1)
	v_sub_nc_u32_e32 v4, v10, v4
	v_subrev_nc_u32_e32 v7, s24, v4
	v_cmp_le_u32_e32 vcc_lo, s24, v4
	s_wait_alu 0xfffd
	s_delay_alu instid0(VALU_DEP_2) | instskip(NEXT) | instid1(VALU_DEP_1)
	v_dual_cndmask_b32 v4, v4, v7 :: v_dual_cndmask_b32 v3, v3, v6
	v_cmp_le_u32_e32 vcc_lo, s24, v4
	s_delay_alu instid0(VALU_DEP_2) | instskip(SKIP_1) | instid1(VALU_DEP_1)
	v_add_nc_u32_e32 v6, 1, v3
	s_wait_alu 0xfffd
	v_dual_mov_b32 v4, v5 :: v_dual_cndmask_b32 v3, v3, v6
.LBB0_6:                                ;   in Loop: Header=BB0_2 Depth=1
	s_wait_alu 0xfffe
	s_or_b32 exec_lo, exec_lo, s2
	s_delay_alu instid0(VALU_DEP_1) | instskip(NEXT) | instid1(VALU_DEP_2)
	v_mul_lo_u32 v12, v4, s24
	v_mul_lo_u32 v13, v3, s25
	s_load_b64 s[26:27], s[18:19], 0x0
	v_mad_co_u64_u32 v[6:7], null, v3, s24, 0
	s_load_b64 s[24:25], s[16:17], 0x0
	s_add_nc_u64 s[20:21], s[20:21], 1
	s_add_nc_u64 s[16:17], s[16:17], 8
	s_wait_alu 0xfffe
	v_cmp_ge_u64_e64 s2, s[20:21], s[10:11]
	s_add_nc_u64 s[18:19], s[18:19], 8
	s_add_nc_u64 s[22:23], s[22:23], 8
	v_add3_u32 v7, v7, v13, v12
	v_sub_co_u32 v6, vcc_lo, v10, v6
	s_wait_alu 0xfffd
	s_delay_alu instid0(VALU_DEP_2) | instskip(SKIP_2) | instid1(VALU_DEP_1)
	v_sub_co_ci_u32_e32 v7, vcc_lo, v11, v7, vcc_lo
	s_and_b32 vcc_lo, exec_lo, s2
	s_wait_kmcnt 0x0
	v_mul_lo_u32 v10, s26, v7
	v_mul_lo_u32 v11, s27, v6
	v_mad_co_u64_u32 v[8:9], null, s26, v6, v[8:9]
	v_mul_lo_u32 v7, s24, v7
	v_mul_lo_u32 v12, s25, v6
	v_mad_co_u64_u32 v[1:2], null, s24, v6, v[1:2]
	s_delay_alu instid0(VALU_DEP_4) | instskip(NEXT) | instid1(VALU_DEP_2)
	v_add3_u32 v9, v11, v9, v10
	v_add3_u32 v2, v12, v2, v7
	s_wait_alu 0xfffe
	s_cbranch_vccnz .LBB0_9
; %bb.7:                                ;   in Loop: Header=BB0_2 Depth=1
	v_dual_mov_b32 v11, v4 :: v_dual_mov_b32 v10, v3
	s_branch .LBB0_2
.LBB0_8:
	v_dual_mov_b32 v1, v8 :: v_dual_mov_b32 v2, v9
	v_dual_mov_b32 v3, v10 :: v_dual_mov_b32 v4, v11
.LBB0_9:
	s_load_b64 s[0:1], s[0:1], 0x28
	v_mul_hi_u32 v6, 0x1767dcf, v0
	s_lshl_b64 s[10:11], s[10:11], 3
                                        ; implicit-def: $vgpr35
	s_wait_alu 0xfffe
	s_add_nc_u64 s[2:3], s[14:15], s[10:11]
                                        ; implicit-def: $sgpr14
	s_wait_kmcnt 0x0
	v_cmp_gt_u64_e32 vcc_lo, s[0:1], v[3:4]
	v_cmp_le_u64_e64 s0, s[0:1], v[3:4]
	s_delay_alu instid0(VALU_DEP_1)
	s_and_saveexec_b32 s1, s0
	s_wait_alu 0xfffe
	s_xor_b32 s0, exec_lo, s1
; %bb.10:
	v_mul_u32_u24_e32 v5, 0xaf, v6
	s_mov_b32 s14, 0
                                        ; implicit-def: $vgpr6
                                        ; implicit-def: $vgpr8_vgpr9
	s_delay_alu instid0(VALU_DEP_1)
	v_sub_nc_u32_e32 v35, v0, v5
                                        ; implicit-def: $vgpr0
; %bb.11:
	s_wait_alu 0xfffe
	s_or_saveexec_b32 s1, s0
	s_load_b64 s[2:3], s[2:3], 0x0
	v_mov_b32_e32 v5, s14
                                        ; implicit-def: $vgpr12
                                        ; implicit-def: $vgpr26
                                        ; implicit-def: $vgpr28
                                        ; implicit-def: $vgpr30
                                        ; implicit-def: $vgpr18
                                        ; implicit-def: $vgpr24
                                        ; implicit-def: $vgpr22
                                        ; implicit-def: $vgpr20
                                        ; implicit-def: $vgpr7
                                        ; implicit-def: $vgpr32
	s_xor_b32 exec_lo, exec_lo, s1
	s_cbranch_execz .LBB0_15
; %bb.12:
	s_add_nc_u64 s[10:11], s[12:13], s[10:11]
	v_mul_u32_u24_e32 v12, 0xaf, v6
	s_load_b64 s[10:11], s[10:11], 0x0
                                        ; implicit-def: $vgpr19
                                        ; implicit-def: $vgpr21
                                        ; implicit-def: $vgpr23
                                        ; implicit-def: $vgpr17
	s_delay_alu instid0(VALU_DEP_1) | instskip(SKIP_4) | instid1(VALU_DEP_1)
	v_sub_nc_u32_e32 v35, v0, v12
	s_wait_kmcnt 0x0
	v_mul_lo_u32 v5, s11, v3
	v_mul_lo_u32 v7, s10, v4
	v_mad_co_u64_u32 v[10:11], null, s10, v3, 0
	v_add3_u32 v11, v11, v7, v5
	v_lshlrev_b64_e32 v[7:8], 3, v[8:9]
	s_delay_alu instid0(VALU_DEP_2) | instskip(NEXT) | instid1(VALU_DEP_1)
	v_lshlrev_b64_e32 v[5:6], 3, v[10:11]
	v_add_co_u32 v0, s0, s4, v5
	s_wait_alu 0xf1ff
	s_delay_alu instid0(VALU_DEP_2) | instskip(SKIP_1) | instid1(VALU_DEP_3)
	v_add_co_ci_u32_e64 v5, s0, s5, v6, s0
	v_lshlrev_b32_e32 v6, 3, v35
	v_add_co_u32 v0, s0, v0, v7
	s_wait_alu 0xf1ff
	s_delay_alu instid0(VALU_DEP_3) | instskip(SKIP_1) | instid1(VALU_DEP_2)
	v_add_co_ci_u32_e64 v5, s0, v5, v8, s0
	s_mov_b32 s4, exec_lo
	v_add_co_u32 v8, s0, v0, v6
	s_wait_alu 0xf1ff
	s_delay_alu instid0(VALU_DEP_2)
	v_add_co_ci_u32_e64 v9, s0, 0, v5, s0
                                        ; implicit-def: $vgpr6
	s_clause 0x4
	global_load_b64 v[11:12], v[8:9], off
	global_load_b64 v[25:26], v[8:9], off offset:1960
	global_load_b64 v[27:28], v[8:9], off offset:3920
	;; [unrolled: 1-line block ×4, first 2 shown]
	v_cmpx_gt_u32_e32 0x46, v35
; %bb.13:
	s_clause 0x4
	global_load_b64 v[6:7], v[8:9], off offset:1400
	global_load_b64 v[19:20], v[8:9], off offset:3360
	;; [unrolled: 1-line block ×5, first 2 shown]
; %bb.14:
	s_wait_alu 0xfffe
	s_or_b32 exec_lo, exec_lo, s4
	v_mov_b32_e32 v5, v35
.LBB0_15:
	s_or_b32 exec_lo, exec_lo, s1
	s_wait_loadcnt 0x0
	v_dual_add_f32 v0, v31, v27 :: v_dual_sub_f32 v9, v26, v30
	v_dual_sub_f32 v10, v28, v32 :: v_dual_add_f32 v15, v25, v29
	v_dual_add_f32 v8, v11, v25 :: v_dual_sub_f32 v13, v25, v27
	s_delay_alu instid0(VALU_DEP_3) | instskip(SKIP_1) | instid1(VALU_DEP_4)
	v_fma_f32 v0, -0.5, v0, v11
	v_cmp_gt_u32_e64 s0, 0x46, v35
	v_fmac_f32_e32 v11, -0.5, v15
	v_sub_f32_e32 v14, v29, v31
	v_sub_f32_e32 v34, v31, v29
	v_fmamk_f32 v16, v9, 0xbf737871, v0
	s_delay_alu instid0(VALU_DEP_4) | instskip(NEXT) | instid1(VALU_DEP_4)
	v_dual_fmac_f32 v0, 0x3f737871, v9 :: v_dual_fmamk_f32 v15, v10, 0x3f737871, v11
	v_dual_add_f32 v8, v8, v27 :: v_dual_add_f32 v13, v13, v14
	v_add_f32_e32 v14, v19, v6
	v_fmac_f32_e32 v11, 0xbf737871, v10
	s_delay_alu instid0(VALU_DEP_3) | instskip(SKIP_1) | instid1(VALU_DEP_3)
	v_dual_fmac_f32 v15, 0xbf167918, v9 :: v_dual_add_f32 v8, v8, v31
	v_fmac_f32_e32 v16, 0xbf167918, v10
	v_dual_fmac_f32 v0, 0x3f167918, v10 :: v_dual_fmac_f32 v11, 0x3f167918, v9
	v_add_f32_e32 v10, v21, v14
	v_dual_sub_f32 v14, v20, v18 :: v_dual_sub_f32 v37, v17, v23
	s_delay_alu instid0(VALU_DEP_4) | instskip(NEXT) | instid1(VALU_DEP_4)
	v_fmac_f32_e32 v16, 0x3e9e377a, v13
	v_fmac_f32_e32 v0, 0x3e9e377a, v13
	v_sub_f32_e32 v13, v27, v25
	v_add_f32_e32 v33, v8, v29
	v_add_f32_e32 v8, v23, v21
	v_sub_f32_e32 v39, v23, v17
	s_delay_alu instid0(VALU_DEP_2) | instskip(SKIP_2) | instid1(VALU_DEP_3)
	v_fma_f32 v36, -0.5, v8, v6
	v_add_f32_e32 v8, v13, v34
	v_dual_add_f32 v13, v17, v19 :: v_dual_sub_f32 v34, v22, v24
	v_fmamk_f32 v9, v14, 0xbf737871, v36
	v_fmac_f32_e32 v36, 0x3f737871, v14
	s_delay_alu instid0(VALU_DEP_3) | instskip(SKIP_1) | instid1(VALU_DEP_2)
	v_dual_fmac_f32 v6, -0.5, v13 :: v_dual_fmac_f32 v15, 0x3e9e377a, v8
	v_fmac_f32_e32 v11, 0x3e9e377a, v8
	v_dual_fmamk_f32 v13, v34, 0x3f737871, v6 :: v_dual_add_f32 v10, v23, v10
	s_delay_alu instid0(VALU_DEP_1) | instskip(SKIP_1) | instid1(VALU_DEP_3)
	v_fmac_f32_e32 v13, 0xbf167918, v14
	v_dual_fmac_f32 v9, 0xbf167918, v34 :: v_dual_sub_f32 v38, v21, v19
	v_add_f32_e32 v8, v17, v10
	v_fmac_f32_e32 v6, 0xbf737871, v34
	v_fmac_f32_e32 v36, 0x3f167918, v34
	s_delay_alu instid0(VALU_DEP_4) | instskip(SKIP_1) | instid1(VALU_DEP_4)
	v_add_f32_e32 v34, v39, v38
	v_sub_f32_e32 v10, v19, v21
	v_fmac_f32_e32 v6, 0x3f167918, v14
	v_mad_u32_u24 v38, v35, 20, 0
	ds_store_2addr_b32 v38, v33, v16 offset1:1
	ds_store_2addr_b32 v38, v15, v11 offset0:2 offset1:3
	ds_store_b32 v38, v0 offset:16
	v_fmac_f32_e32 v13, 0x3e9e377a, v34
	v_add_f32_e32 v10, v37, v10
	v_fmac_f32_e32 v6, 0x3e9e377a, v34
	v_add_nc_u32_e32 v39, 0xdac, v38
	v_add_nc_u32_e32 v40, 0xdb4, v38
	s_delay_alu instid0(VALU_DEP_4)
	v_fmac_f32_e32 v9, 0x3e9e377a, v10
	v_fmac_f32_e32 v36, 0x3e9e377a, v10
	s_and_saveexec_b32 s1, s0
	s_cbranch_execz .LBB0_17
; %bb.16:
	ds_store_2addr_b32 v40, v13, v6 offset1:1
	ds_store_2addr_b32 v39, v8, v9 offset1:1
	ds_store_b32 v38, v36 offset:3516
.LBB0_17:
	s_wait_alu 0xfffe
	s_or_b32 exec_lo, exec_lo, s1
	v_lshlrev_b32_e32 v0, 4, v35
	global_wb scope:SCOPE_SE
	s_wait_dscnt 0x0
	s_wait_kmcnt 0x0
	s_barrier_signal -1
	s_barrier_wait -1
	global_inv scope:SCOPE_SE
	v_sub_nc_u32_e32 v10, v38, v0
	v_sub_nc_u32_e32 v0, 0, v0
	s_delay_alu instid0(VALU_DEP_2) | instskip(NEXT) | instid1(VALU_DEP_2)
	v_add_nc_u32_e32 v11, 0x780, v10
	v_add_nc_u32_e32 v0, v38, v0
	ds_load_2addr_b32 v[15:16], v10 offset1:245
	ds_load_2addr_b32 v[33:34], v11 offset0:10 offset1:255
	ds_load_b32 v37, v10 offset:3920
	s_and_saveexec_b32 s1, s0
	s_cbranch_execz .LBB0_19
; %bb.18:
	v_add_nc_u32_e32 v6, 0xa40, v0
	v_add_nc_u32_e32 v8, 0x2a0, v0
	ds_load_2addr_b32 v[13:14], v6 offset0:9 offset1:254
	ds_load_2addr_b32 v[8:9], v8 offset0:7 offset1:252
	ds_load_b32 v36, v0 offset:4620
	s_wait_dscnt 0x2
	v_mov_b32_e32 v6, v14
.LBB0_19:
	s_wait_alu 0xfffe
	s_or_b32 exec_lo, exec_lo, s1
	v_dual_add_f32 v10, v32, v28 :: v_dual_sub_f32 v25, v25, v29
	v_dual_add_f32 v11, v12, v26 :: v_dual_sub_f32 v14, v27, v31
	v_add_f32_e32 v31, v26, v30
	s_delay_alu instid0(VALU_DEP_3) | instskip(SKIP_3) | instid1(VALU_DEP_4)
	v_fma_f32 v27, -0.5, v10, v12
	v_sub_f32_e32 v10, v26, v28
	v_sub_f32_e32 v29, v30, v32
	;; [unrolled: 1-line block ×3, first 2 shown]
	v_dual_fmac_f32 v12, -0.5, v31 :: v_dual_fmamk_f32 v41, v25, 0x3f737871, v27
	s_delay_alu instid0(VALU_DEP_3) | instskip(SKIP_1) | instid1(VALU_DEP_3)
	v_dual_add_f32 v11, v11, v28 :: v_dual_add_f32 v10, v10, v29
	v_sub_f32_e32 v17, v19, v17
	v_fmamk_f32 v31, v14, 0xbf737871, v12
	s_delay_alu instid0(VALU_DEP_3) | instskip(SKIP_2) | instid1(VALU_DEP_4)
	v_dual_fmac_f32 v12, 0x3f737871, v14 :: v_dual_add_f32 v11, v11, v32
	v_fmac_f32_e32 v27, 0xbf737871, v25
	v_add_f32_e32 v29, v24, v22
	v_fmac_f32_e32 v31, 0x3f167918, v25
	s_delay_alu instid0(VALU_DEP_4)
	v_fmac_f32_e32 v12, 0xbf167918, v25
	v_add_f32_e32 v42, v11, v30
	v_fmac_f32_e32 v27, 0xbf167918, v14
	v_sub_f32_e32 v11, v32, v30
	v_fmac_f32_e32 v41, 0x3f167918, v14
	v_fma_f32 v14, -0.5, v29, v7
	v_sub_f32_e32 v23, v20, v22
	v_fmac_f32_e32 v27, 0x3e9e377a, v10
	global_wb scope:SCOPE_SE
	s_wait_dscnt 0x0
	v_fmac_f32_e32 v41, 0x3e9e377a, v10
	v_sub_f32_e32 v10, v28, v26
	v_add_f32_e32 v26, v20, v7
	s_barrier_signal -1
	s_barrier_wait -1
	global_inv scope:SCOPE_SE
	v_add_f32_e32 v10, v10, v11
	v_add_f32_e32 v25, v18, v20
	v_fmamk_f32 v11, v17, 0x3f737871, v14
	v_fmac_f32_e32 v14, 0xbf737871, v17
	v_sub_f32_e32 v20, v22, v20
	s_delay_alu instid0(VALU_DEP_4) | instskip(NEXT) | instid1(VALU_DEP_3)
	v_dual_fmac_f32 v12, 0x3e9e377a, v10 :: v_dual_fmac_f32 v7, -0.5, v25
	v_dual_sub_f32 v25, v18, v24 :: v_dual_fmac_f32 v14, 0xbf167918, v21
	s_delay_alu instid0(VALU_DEP_1) | instskip(SKIP_2) | instid1(VALU_DEP_3)
	v_add_f32_e32 v23, v25, v23
	v_add_f32_e32 v19, v22, v26
	v_sub_f32_e32 v22, v24, v18
	v_dual_fmac_f32 v31, 0x3e9e377a, v10 :: v_dual_fmac_f32 v14, 0x3e9e377a, v23
	s_delay_alu instid0(VALU_DEP_3) | instskip(NEXT) | instid1(VALU_DEP_3)
	v_dual_add_f32 v10, v24, v19 :: v_dual_fmamk_f32 v19, v21, 0xbf737871, v7
	v_dual_fmac_f32 v7, 0x3f737871, v21 :: v_dual_add_f32 v20, v22, v20
	ds_store_2addr_b32 v38, v42, v41 offset1:1
	ds_store_2addr_b32 v38, v31, v12 offset0:2 offset1:3
	ds_store_b32 v38, v27 offset:16
	v_dual_add_f32 v10, v18, v10 :: v_dual_fmac_f32 v11, 0x3f167918, v21
	v_fmac_f32_e32 v19, 0x3f167918, v17
	v_fmac_f32_e32 v7, 0xbf167918, v17
	s_delay_alu instid0(VALU_DEP_3) | instskip(NEXT) | instid1(VALU_DEP_3)
	v_fmac_f32_e32 v11, 0x3e9e377a, v23
	v_fmac_f32_e32 v19, 0x3e9e377a, v20
	s_delay_alu instid0(VALU_DEP_3)
	v_fmac_f32_e32 v7, 0x3e9e377a, v20
	s_and_saveexec_b32 s1, s0
	s_cbranch_execz .LBB0_21
; %bb.20:
	ds_store_2addr_b32 v40, v19, v7 offset1:1
	ds_store_2addr_b32 v39, v10, v11 offset1:1
	ds_store_b32 v38, v14 offset:3516
.LBB0_21:
	s_wait_alu 0xfffe
	s_or_b32 exec_lo, exec_lo, s1
	v_add_nc_u32_e32 v12, 0x780, v0
	global_wb scope:SCOPE_SE
	s_wait_dscnt 0x0
	s_barrier_signal -1
	s_barrier_wait -1
	global_inv scope:SCOPE_SE
	ds_load_2addr_b32 v[17:18], v0 offset1:245
	ds_load_2addr_b32 v[21:22], v12 offset0:10 offset1:255
	ds_load_b32 v25, v0 offset:3920
	s_and_saveexec_b32 s1, s0
	s_cbranch_execz .LBB0_23
; %bb.22:
	v_add_nc_u32_e32 v7, 0xa40, v0
	v_add_nc_u32_e32 v10, 0x2a0, v0
	ds_load_2addr_b32 v[19:20], v7 offset0:9 offset1:254
	ds_load_2addr_b32 v[10:11], v10 offset0:7 offset1:252
	ds_load_b32 v14, v0 offset:4620
	s_wait_dscnt 0x2
	v_mov_b32_e32 v7, v20
.LBB0_23:
	s_wait_alu 0xfffe
	s_or_b32 exec_lo, exec_lo, s1
	v_and_b32_e32 v12, 0xff, v35
	v_add_nc_u32_e32 v23, 0xaf, v35
	s_delay_alu instid0(VALU_DEP_2) | instskip(NEXT) | instid1(VALU_DEP_2)
	v_mul_lo_u16 v20, 0xcd, v12
	v_and_b32_e32 v26, 0xffff, v23
	s_delay_alu instid0(VALU_DEP_2) | instskip(NEXT) | instid1(VALU_DEP_2)
	v_lshrrev_b16 v20, 10, v20
	v_mul_u32_u24_e32 v26, 0xcccd, v26
	s_delay_alu instid0(VALU_DEP_2) | instskip(NEXT) | instid1(VALU_DEP_2)
	v_mul_lo_u16 v24, v20, 5
	v_lshrrev_b32_e32 v26, 18, v26
	s_delay_alu instid0(VALU_DEP_2) | instskip(NEXT) | instid1(VALU_DEP_2)
	v_sub_nc_u16 v24, v35, v24
	v_mul_lo_u16 v31, v26, 5
	s_delay_alu instid0(VALU_DEP_2) | instskip(NEXT) | instid1(VALU_DEP_1)
	v_and_b32_e32 v24, 0xff, v24
	v_lshlrev_b32_e32 v30, 5, v24
	s_clause 0x1
	global_load_b128 v[26:29], v30, s[8:9]
	global_load_b128 v[41:44], v30, s[8:9] offset:16
	s_wait_loadcnt_dscnt 0x101
	v_mul_f32_e32 v38, v21, v29
	v_sub_nc_u16 v31, v23, v31
	v_mul_f32_e32 v29, v33, v29
	s_wait_loadcnt 0x0
	v_mul_f32_e32 v39, v22, v42
	v_and_b32_e32 v23, 0xff, v23
	v_mul_f32_e32 v32, v18, v27
	v_and_b32_e32 v30, 0xffff, v31
	v_mul_f32_e32 v27, v16, v27
	v_fmac_f32_e32 v39, v34, v41
	s_delay_alu instid0(VALU_DEP_3)
	v_lshlrev_b32_e32 v31, 5, v30
	s_clause 0x1
	global_load_b128 v[45:48], v31, s[8:9]
	global_load_b128 v[49:52], v31, s[8:9] offset:16
	v_and_b32_e32 v20, 0xffff, v20
	v_fmac_f32_e32 v32, v16, v26
	v_fma_f32 v16, v18, v26, -v27
	v_fmac_f32_e32 v38, v33, v28
	v_fma_f32 v18, v21, v28, -v29
	v_mul_u32_u24_e32 v20, 0x64, v20
	global_wb scope:SCOPE_SE
	s_wait_loadcnt_dscnt 0x0
	s_barrier_signal -1
	s_barrier_wait -1
	global_inv scope:SCOPE_SE
	v_mul_f32_e32 v27, v19, v48
	v_dual_mul_f32 v21, v9, v46 :: v_dual_lshlrev_b32 v24, 2, v24
	v_mul_f32_e32 v29, v14, v52
	v_mul_f32_e32 v40, v25, v44
	s_delay_alu instid0(VALU_DEP_4) | instskip(NEXT) | instid1(VALU_DEP_4)
	v_fmac_f32_e32 v27, v13, v47
	v_add3_u32 v24, 0, v20, v24
	v_lshlrev_b32_e32 v20, 2, v30
	v_mul_f32_e32 v30, v34, v42
	v_mul_f32_e32 v42, v37, v44
	;; [unrolled: 1-line block ×3, first 2 shown]
	v_fma_f32 v21, v11, v45, -v21
	v_fmac_f32_e32 v29, v36, v51
	v_fma_f32 v31, v22, v41, -v30
	v_fma_f32 v30, v25, v43, -v42
	v_mul_f32_e32 v26, v11, v46
	v_dual_fmac_f32 v40, v37, v43 :: v_dual_mul_f32 v25, v6, v50
	s_delay_alu instid0(VALU_DEP_4) | instskip(NEXT) | instid1(VALU_DEP_2)
	v_dual_sub_f32 v11, v18, v31 :: v_dual_mul_f32 v28, v7, v50
	v_dual_fmac_f32 v26, v9, v45 :: v_dual_sub_f32 v37, v39, v40
	v_dual_sub_f32 v9, v16, v30 :: v_dual_mul_f32 v22, v13, v48
	v_sub_f32_e32 v13, v32, v38
	s_delay_alu instid0(VALU_DEP_2) | instskip(SKIP_3) | instid1(VALU_DEP_2)
	v_fma_f32 v19, v19, v47, -v22
	v_fma_f32 v22, v7, v49, -v25
	v_add_f32_e32 v7, v38, v39
	v_add_f32_e32 v25, v32, v40
	v_fma_f32 v7, -0.5, v7, v15
	v_sub_f32_e32 v34, v40, v39
	v_fmac_f32_e32 v28, v6, v49
	s_delay_alu instid0(VALU_DEP_4) | instskip(NEXT) | instid1(VALU_DEP_3)
	v_dual_add_f32 v6, v15, v32 :: v_dual_fmac_f32 v15, -0.5, v25
	v_dual_sub_f32 v36, v38, v32 :: v_dual_add_f32 v13, v13, v34
	v_fmamk_f32 v34, v9, 0xbf737871, v7
	s_delay_alu instid0(VALU_DEP_3) | instskip(NEXT) | instid1(VALU_DEP_3)
	v_dual_add_f32 v6, v6, v38 :: v_dual_fmac_f32 v7, 0x3f737871, v9
	v_dual_add_f32 v25, v36, v37 :: v_dual_fmamk_f32 v36, v11, 0x3f737871, v15
	v_fmac_f32_e32 v15, 0xbf737871, v11
	s_delay_alu instid0(VALU_DEP_3) | instskip(SKIP_1) | instid1(VALU_DEP_4)
	v_add_f32_e32 v6, v6, v39
	v_fmac_f32_e32 v34, 0xbf167918, v11
	v_fmac_f32_e32 v36, 0xbf167918, v9
	s_delay_alu instid0(VALU_DEP_4) | instskip(NEXT) | instid1(VALU_DEP_4)
	v_fmac_f32_e32 v15, 0x3f167918, v9
	v_dual_fmac_f32 v7, 0x3f167918, v11 :: v_dual_add_f32 v6, v6, v40
	s_delay_alu instid0(VALU_DEP_4) | instskip(NEXT) | instid1(VALU_DEP_4)
	v_fmac_f32_e32 v34, 0x3e9e377a, v13
	v_fmac_f32_e32 v36, 0x3e9e377a, v25
	s_delay_alu instid0(VALU_DEP_4)
	v_fmac_f32_e32 v15, 0x3e9e377a, v25
	v_fma_f32 v25, v14, v51, -v33
	v_fmac_f32_e32 v7, 0x3e9e377a, v13
	ds_store_2addr_b32 v24, v6, v34 offset1:5
	ds_store_2addr_b32 v24, v36, v15 offset0:10 offset1:15
	ds_store_b32 v24, v7 offset:80
	s_and_saveexec_b32 s1, s0
	s_cbranch_execz .LBB0_25
; %bb.24:
	v_dual_add_f32 v6, v26, v29 :: v_dual_sub_f32 v7, v27, v26
	v_dual_sub_f32 v9, v28, v29 :: v_dual_sub_f32 v14, v26, v27
	v_mul_lo_u16 v34, 0xcd, v23
	s_delay_alu instid0(VALU_DEP_3) | instskip(NEXT) | instid1(VALU_DEP_3)
	v_fma_f32 v6, -0.5, v6, v8
	v_add_f32_e32 v7, v7, v9
	v_sub_f32_e32 v11, v21, v25
	v_sub_f32_e32 v13, v19, v22
	v_add_f32_e32 v15, v27, v28
	v_lshrrev_b16 v9, 10, v34
	s_delay_alu instid0(VALU_DEP_3) | instskip(NEXT) | instid1(VALU_DEP_2)
	v_fmamk_f32 v36, v13, 0xbf737871, v6
	v_and_b32_e32 v9, 0xffff, v9
	s_delay_alu instid0(VALU_DEP_2) | instskip(SKIP_1) | instid1(VALU_DEP_3)
	v_fmac_f32_e32 v36, 0x3f167918, v11
	v_fmac_f32_e32 v6, 0x3f737871, v13
	v_mul_u32_u24_e32 v9, 0x64, v9
	s_delay_alu instid0(VALU_DEP_3) | instskip(SKIP_2) | instid1(VALU_DEP_4)
	v_dual_fmac_f32 v36, 0x3e9e377a, v7 :: v_dual_add_f32 v37, v8, v26
	v_fma_f32 v8, -0.5, v15, v8
	v_sub_f32_e32 v33, v29, v28
	v_add3_u32 v9, 0, v9, v20
	v_fmac_f32_e32 v6, 0xbf167918, v11
	s_delay_alu instid0(VALU_DEP_4) | instskip(SKIP_2) | instid1(VALU_DEP_4)
	v_fmamk_f32 v34, v11, 0x3f737871, v8
	v_fmac_f32_e32 v8, 0xbf737871, v11
	v_dual_add_f32 v15, v37, v27 :: v_dual_add_f32 v14, v14, v33
	v_fmac_f32_e32 v6, 0x3e9e377a, v7
	s_delay_alu instid0(VALU_DEP_4) | instskip(NEXT) | instid1(VALU_DEP_3)
	v_fmac_f32_e32 v34, 0x3f167918, v13
	v_dual_fmac_f32 v8, 0xbf167918, v13 :: v_dual_add_f32 v15, v15, v28
	s_delay_alu instid0(VALU_DEP_2) | instskip(NEXT) | instid1(VALU_DEP_2)
	v_fmac_f32_e32 v34, 0x3e9e377a, v14
	v_dual_fmac_f32 v8, 0x3e9e377a, v14 :: v_dual_add_f32 v11, v15, v29
	ds_store_2addr_b32 v9, v11, v8 offset1:5
	ds_store_2addr_b32 v9, v6, v36 offset0:10 offset1:15
	ds_store_b32 v9, v34 offset:80
.LBB0_25:
	s_wait_alu 0xfffe
	s_or_b32 exec_lo, exec_lo, s1
	v_dual_add_f32 v6, v18, v31 :: v_dual_add_f32 v7, v17, v16
	v_dual_add_f32 v8, v16, v30 :: v_dual_sub_f32 v37, v30, v31
	v_sub_f32_e32 v36, v16, v18
	s_delay_alu instid0(VALU_DEP_3) | instskip(NEXT) | instid1(VALU_DEP_4)
	v_fma_f32 v34, -0.5, v6, v17
	v_add_f32_e32 v6, v7, v18
	v_lshl_add_u32 v11, v35, 2, 0
	v_fmac_f32_e32 v17, -0.5, v8
	v_dual_add_f32 v36, v36, v37 :: v_dual_add_nc_u32 v13, 0x500, v0
	v_add_nc_u32_e32 v14, 0xa00, v0
	v_dual_sub_f32 v32, v32, v40 :: v_dual_sub_f32 v33, v38, v39
	v_sub_f32_e32 v39, v18, v16
	v_add_f32_e32 v40, v6, v31
	global_wb scope:SCOPE_SE
	s_wait_dscnt 0x0
	s_barrier_signal -1
	v_fmamk_f32 v41, v33, 0xbf737871, v17
	s_barrier_wait -1
	global_inv scope:SCOPE_SE
	ds_load_b32 v16, v0 offset:4200
	ds_load_b32 v15, v0
	ds_load_b32 v18, v11 offset:700
	ds_load_2addr_b32 v[8:9], v13 offset0:30 offset1:205
	ds_load_2addr_b32 v[6:7], v14 offset0:60 offset1:235
	v_dual_fmamk_f32 v38, v32, 0x3f737871, v34 :: v_dual_sub_f32 v31, v31, v30
	v_fmac_f32_e32 v34, 0xbf737871, v32
	v_dual_fmac_f32 v17, 0x3f737871, v33 :: v_dual_add_f32 v30, v40, v30
	s_delay_alu instid0(VALU_DEP_3) | instskip(NEXT) | instid1(VALU_DEP_3)
	v_dual_fmac_f32 v38, 0x3f167918, v33 :: v_dual_fmac_f32 v41, 0x3f167918, v32
	v_dual_add_f32 v31, v39, v31 :: v_dual_fmac_f32 v34, 0xbf167918, v33
	s_delay_alu instid0(VALU_DEP_3) | instskip(NEXT) | instid1(VALU_DEP_3)
	v_fmac_f32_e32 v17, 0xbf167918, v32
	v_fmac_f32_e32 v38, 0x3e9e377a, v36
	global_wb scope:SCOPE_SE
	s_wait_dscnt 0x0
	v_dual_fmac_f32 v41, 0x3e9e377a, v31 :: v_dual_fmac_f32 v34, 0x3e9e377a, v36
	v_fmac_f32_e32 v17, 0x3e9e377a, v31
	s_barrier_signal -1
	s_barrier_wait -1
	global_inv scope:SCOPE_SE
	ds_store_2addr_b32 v24, v30, v38 offset1:5
	ds_store_2addr_b32 v24, v41, v17 offset0:10 offset1:15
	ds_store_b32 v24, v34 offset:80
	s_and_saveexec_b32 s1, s0
	s_cbranch_execz .LBB0_27
; %bb.26:
	v_dual_add_f32 v17, v10, v21 :: v_dual_add_f32 v24, v19, v22
	v_dual_sub_f32 v26, v26, v29 :: v_dual_sub_f32 v27, v27, v28
	v_mul_lo_u16 v23, 0xcd, v23
	s_delay_alu instid0(VALU_DEP_3) | instskip(NEXT) | instid1(VALU_DEP_4)
	v_fma_f32 v24, -0.5, v24, v10
	v_add_f32_e32 v17, v17, v19
	s_delay_alu instid0(VALU_DEP_3) | instskip(NEXT) | instid1(VALU_DEP_3)
	v_lshrrev_b16 v23, 10, v23
	v_dual_sub_f32 v31, v25, v22 :: v_dual_fmamk_f32 v30, v26, 0x3f737871, v24
	v_dual_add_f32 v29, v21, v25 :: v_dual_fmac_f32 v24, 0xbf737871, v26
	s_delay_alu instid0(VALU_DEP_2) | instskip(NEXT) | instid1(VALU_DEP_2)
	v_dual_fmac_f32 v30, 0x3f167918, v27 :: v_dual_add_f32 v17, v17, v22
	v_fmac_f32_e32 v10, -0.5, v29
	v_dual_sub_f32 v28, v21, v19 :: v_dual_sub_f32 v19, v19, v21
	v_dual_sub_f32 v21, v22, v25 :: v_dual_and_b32 v22, 0xffff, v23
	s_delay_alu instid0(VALU_DEP_3) | instskip(SKIP_1) | instid1(VALU_DEP_3)
	v_fmamk_f32 v29, v27, 0xbf737871, v10
	v_dual_fmac_f32 v10, 0x3f737871, v27 :: v_dual_add_f32 v17, v17, v25
	v_dual_add_f32 v28, v28, v31 :: v_dual_add_f32 v19, v19, v21
	s_delay_alu instid0(VALU_DEP_4) | instskip(NEXT) | instid1(VALU_DEP_3)
	v_mul_u32_u24_e32 v21, 0x64, v22
	v_fmac_f32_e32 v10, 0xbf167918, v26
	v_fmac_f32_e32 v29, 0x3f167918, v26
	;; [unrolled: 1-line block ×4, first 2 shown]
	v_add3_u32 v20, 0, v21, v20
	v_fmac_f32_e32 v10, 0x3e9e377a, v19
	s_delay_alu instid0(VALU_DEP_4)
	v_dual_fmac_f32 v29, 0x3e9e377a, v19 :: v_dual_fmac_f32 v24, 0x3e9e377a, v28
	ds_store_2addr_b32 v20, v17, v30 offset1:5
	ds_store_2addr_b32 v20, v29, v10 offset0:10 offset1:15
	ds_store_b32 v20, v24 offset:80
.LBB0_27:
	s_wait_alu 0xfffe
	s_or_b32 exec_lo, exec_lo, s1
	v_mul_lo_u16 v10, v12, 41
	global_wb scope:SCOPE_SE
	s_wait_dscnt 0x0
	s_barrier_signal -1
	s_barrier_wait -1
	global_inv scope:SCOPE_SE
	v_lshrrev_b16 v10, 10, v10
	s_delay_alu instid0(VALU_DEP_1) | instskip(NEXT) | instid1(VALU_DEP_1)
	v_mul_lo_u16 v12, v10, 25
	v_sub_nc_u16 v12, v35, v12
	s_delay_alu instid0(VALU_DEP_1) | instskip(NEXT) | instid1(VALU_DEP_1)
	v_and_b32_e32 v12, 0xff, v12
	v_mul_u32_u24_e32 v17, 6, v12
	s_delay_alu instid0(VALU_DEP_1)
	v_lshlrev_b32_e32 v17, 3, v17
	s_clause 0x2
	global_load_b128 v[19:22], v17, s[8:9] offset:160
	global_load_b128 v[23:26], v17, s[8:9] offset:176
	;; [unrolled: 1-line block ×3, first 2 shown]
	ds_load_b32 v17, v11 offset:700
	ds_load_2addr_b32 v[31:32], v13 offset0:30 offset1:205
	ds_load_2addr_b32 v[33:34], v14 offset0:60 offset1:235
	ds_load_b32 v36, v0 offset:4200
	v_and_b32_e32 v10, 0xffff, v10
	ds_load_b32 v37, v0
	global_wb scope:SCOPE_SE
	s_wait_loadcnt_dscnt 0x0
	s_barrier_signal -1
	s_barrier_wait -1
	global_inv scope:SCOPE_SE
	v_mul_f32_e32 v39, v32, v24
	v_mul_u32_u24_e32 v10, 0x2bc, v10
	v_dual_mul_f32 v40, v33, v26 :: v_dual_mul_f32 v41, v34, v28
	s_delay_alu instid0(VALU_DEP_3) | instskip(SKIP_1) | instid1(VALU_DEP_3)
	v_dual_mul_f32 v28, v7, v28 :: v_dual_fmac_f32 v39, v9, v23
	v_lshlrev_b32_e32 v12, 2, v12
	v_dual_mul_f32 v42, v36, v30 :: v_dual_fmac_f32 v41, v7, v27
	s_delay_alu instid0(VALU_DEP_3) | instskip(SKIP_1) | instid1(VALU_DEP_4)
	v_fma_f32 v7, v34, v27, -v28
	v_mul_f32_e32 v30, v16, v30
	v_add3_u32 v38, 0, v10, v12
	v_mul_f32_e32 v10, v17, v20
	v_mul_f32_e32 v12, v18, v20
	v_fmac_f32_e32 v42, v16, v29
	v_mul_f32_e32 v20, v31, v22
	s_delay_alu instid0(VALU_DEP_4) | instskip(SKIP_2) | instid1(VALU_DEP_3)
	v_fmac_f32_e32 v10, v18, v19
	v_mul_f32_e32 v24, v9, v24
	v_fma_f32 v12, v17, v19, -v12
	v_dual_fmac_f32 v20, v8, v21 :: v_dual_add_f32 v17, v10, v42
	s_delay_alu instid0(VALU_DEP_3) | instskip(SKIP_1) | instid1(VALU_DEP_1)
	v_fma_f32 v9, v32, v23, -v24
	v_mul_f32_e32 v26, v6, v26
	v_fma_f32 v16, v33, v25, -v26
	v_mul_f32_e32 v22, v8, v22
	s_delay_alu instid0(VALU_DEP_1) | instskip(NEXT) | instid1(VALU_DEP_3)
	v_fma_f32 v8, v31, v21, -v22
	v_add_f32_e32 v21, v9, v16
	v_sub_f32_e32 v9, v16, v9
	s_delay_alu instid0(VALU_DEP_3) | instskip(SKIP_1) | instid1(VALU_DEP_1)
	v_add_f32_e32 v19, v8, v7
	v_dual_sub_f32 v7, v8, v7 :: v_dual_fmac_f32 v40, v6, v25
	v_add_f32_e32 v27, v9, v7
	v_fma_f32 v6, v36, v29, -v30
	s_delay_alu instid0(VALU_DEP_3) | instskip(NEXT) | instid1(VALU_DEP_2)
	v_dual_sub_f32 v29, v9, v7 :: v_dual_add_f32 v8, v39, v40
	v_add_f32_e32 v18, v12, v6
	v_sub_f32_e32 v6, v12, v6
	s_delay_alu instid0(VALU_DEP_1) | instskip(NEXT) | instid1(VALU_DEP_3)
	v_sub_f32_e32 v9, v6, v9
	v_add_f32_e32 v23, v19, v18
	v_dual_sub_f32 v25, v19, v18 :: v_dual_sub_f32 v18, v18, v21
	v_dual_sub_f32 v19, v21, v19 :: v_dual_add_f32 v12, v20, v41
	s_delay_alu instid0(VALU_DEP_2) | instskip(NEXT) | instid1(VALU_DEP_2)
	v_mul_f32_e32 v18, 0x3f4a47b2, v18
	v_add_f32_e32 v16, v12, v17
	v_sub_f32_e32 v24, v12, v17
	v_sub_f32_e32 v12, v8, v12
	;; [unrolled: 1-line block ×3, first 2 shown]
	s_delay_alu instid0(VALU_DEP_4) | instskip(NEXT) | instid1(VALU_DEP_3)
	v_add_f32_e32 v8, v8, v16
	v_dual_add_f32 v16, v21, v23 :: v_dual_mul_f32 v21, 0x3d64c772, v12
	v_dual_sub_f32 v7, v7, v6 :: v_dual_sub_f32 v20, v20, v41
	v_dual_add_f32 v6, v27, v6 :: v_dual_mul_f32 v23, 0x3d64c772, v19
	v_mul_f32_e32 v27, 0x3f08b237, v29
	s_delay_alu instid0(VALU_DEP_3)
	v_dual_mul_f32 v29, 0xbf5ff5aa, v7 :: v_dual_sub_f32 v10, v10, v42
	v_dual_mul_f32 v17, 0x3f4a47b2, v17 :: v_dual_sub_f32 v22, v40, v39
	v_add_f32_e32 v15, v15, v8
	v_dual_add_f32 v30, v37, v16 :: v_dual_fmamk_f32 v19, v19, 0x3d64c772, v18
	v_fma_f32 v23, 0x3f3bfb3b, v25, -v23
	v_fma_f32 v18, 0xbf3bfb3b, v25, -v18
	v_fmamk_f32 v25, v9, 0xbeae86e6, v27
	v_fma_f32 v9, 0x3eae86e6, v9, -v29
	v_add_f32_e32 v26, v22, v20
	v_fma_f32 v7, 0xbf5ff5aa, v7, -v27
	v_fmamk_f32 v16, v16, 0xbf955555, v30
	v_fmamk_f32 v8, v8, 0xbf955555, v15
	v_dual_fmac_f32 v9, 0xbee1c552, v6 :: v_dual_sub_f32 v28, v22, v20
	v_sub_f32_e32 v20, v20, v10
	v_sub_f32_e32 v22, v10, v22
	v_fmac_f32_e32 v7, 0xbee1c552, v6
	v_add_f32_e32 v10, v26, v10
	v_mul_f32_e32 v26, 0x3f08b237, v28
	v_mul_f32_e32 v28, 0xbf5ff5aa, v20
	v_fmamk_f32 v12, v12, 0x3d64c772, v17
	v_fma_f32 v21, 0x3f3bfb3b, v24, -v21
	v_fma_f32 v17, 0xbf3bfb3b, v24, -v17
	v_fmamk_f32 v24, v22, 0xbeae86e6, v26
	v_fma_f32 v20, 0xbf5ff5aa, v20, -v26
	v_fma_f32 v22, 0x3eae86e6, v22, -v28
	v_dual_fmac_f32 v25, 0xbee1c552, v6 :: v_dual_add_f32 v6, v12, v8
	s_delay_alu instid0(VALU_DEP_4) | instskip(NEXT) | instid1(VALU_DEP_4)
	v_fmac_f32_e32 v24, 0xbee1c552, v10
	v_fmac_f32_e32 v20, 0xbee1c552, v10
	s_delay_alu instid0(VALU_DEP_4) | instskip(SKIP_4) | instid1(VALU_DEP_4)
	v_fmac_f32_e32 v22, 0xbee1c552, v10
	v_add_f32_e32 v10, v17, v8
	v_add_f32_e32 v8, v21, v8
	v_dual_add_f32 v12, v25, v6 :: v_dual_add_f32 v17, v19, v16
	v_add_f32_e32 v19, v23, v16
	v_add_f32_e32 v21, v9, v10
	s_delay_alu instid0(VALU_DEP_4)
	v_sub_f32_e32 v23, v8, v7
	v_dual_add_f32 v7, v7, v8 :: v_dual_sub_f32 v8, v10, v9
	v_sub_f32_e32 v6, v6, v25
	v_add_f32_e32 v18, v18, v16
	ds_store_2addr_b32 v38, v15, v12 offset1:25
	ds_store_2addr_b32 v38, v21, v23 offset0:50 offset1:75
	ds_store_2addr_b32 v38, v7, v8 offset0:100 offset1:125
	ds_store_b32 v38, v6 offset:600
	global_wb scope:SCOPE_SE
	s_wait_dscnt 0x0
	s_barrier_signal -1
	s_barrier_wait -1
	global_inv scope:SCOPE_SE
	ds_load_b32 v15, v0 offset:4200
	ds_load_b32 v12, v0
	ds_load_b32 v16, v11 offset:700
	ds_load_2addr_b32 v[7:8], v13 offset0:30 offset1:205
	ds_load_2addr_b32 v[9:10], v14 offset0:60 offset1:235
	v_dual_sub_f32 v6, v17, v24 :: v_dual_sub_f32 v13, v18, v22
	v_dual_add_f32 v14, v20, v19 :: v_dual_sub_f32 v19, v19, v20
	v_dual_add_f32 v18, v22, v18 :: v_dual_add_f32 v17, v24, v17
	global_wb scope:SCOPE_SE
	s_wait_dscnt 0x0
	s_barrier_signal -1
	s_barrier_wait -1
	global_inv scope:SCOPE_SE
	ds_store_2addr_b32 v38, v30, v6 offset1:25
	ds_store_2addr_b32 v38, v13, v14 offset0:50 offset1:75
	ds_store_2addr_b32 v38, v19, v18 offset0:100 offset1:125
	ds_store_b32 v38, v17 offset:600
	global_wb scope:SCOPE_SE
	s_wait_dscnt 0x0
	s_barrier_signal -1
	s_barrier_wait -1
	global_inv scope:SCOPE_SE
	s_and_saveexec_b32 s0, vcc_lo
	s_cbranch_execz .LBB0_29
; %bb.28:
	v_mul_u32_u24_e32 v6, 6, v35
	v_mul_lo_u32 v13, s2, v4
	s_delay_alu instid0(VALU_DEP_2)
	v_lshlrev_b32_e32 v6, 3, v6
	s_clause 0x2
	global_load_b128 v[17:20], v6, s[8:9] offset:1360
	global_load_b128 v[21:24], v6, s[8:9] offset:1392
	;; [unrolled: 1-line block ×3, first 2 shown]
	v_mul_lo_u32 v6, s3, v3
	v_mad_co_u64_u32 v[3:4], null, s2, v3, 0
	ds_load_b32 v11, v11 offset:700
	v_add_nc_u32_e32 v29, 0x500, v0
	ds_load_b32 v30, v0 offset:4200
	ds_load_b32 v31, v0
	v_add3_u32 v4, v4, v13, v6
	v_dual_mov_b32 v6, 0 :: v_dual_add_nc_u32 v13, 0xa00, v0
	v_lshlrev_b64_e32 v[0:1], 3, v[1:2]
	s_delay_alu instid0(VALU_DEP_3)
	v_lshlrev_b64_e32 v[3:4], 3, v[3:4]
	ds_load_2addr_b32 v[13:14], v13 offset0:60 offset1:235
	v_add_co_u32 v32, vcc_lo, s6, v3
	s_wait_alu 0xfffd
	v_add_co_ci_u32_e32 v4, vcc_lo, s7, v4, vcc_lo
	v_lshlrev_b64_e32 v[2:3], 3, v[5:6]
	s_delay_alu instid0(VALU_DEP_3) | instskip(SKIP_1) | instid1(VALU_DEP_3)
	v_add_co_u32 v5, vcc_lo, v32, v0
	s_wait_alu 0xfffd
	v_add_co_ci_u32_e32 v4, vcc_lo, v4, v1, vcc_lo
	s_delay_alu instid0(VALU_DEP_2) | instskip(SKIP_1) | instid1(VALU_DEP_2)
	v_add_co_u32 v2, vcc_lo, v5, v2
	s_wait_alu 0xfffd
	v_add_co_ci_u32_e32 v3, vcc_lo, v4, v3, vcc_lo
	s_wait_loadcnt 0x2
	v_mul_f32_e32 v4, v16, v17
	ds_load_2addr_b32 v[0:1], v29 offset0:30 offset1:205
	s_wait_loadcnt 0x1
	v_mul_f32_e32 v5, v15, v23
	s_wait_loadcnt 0x0
	v_dual_mul_f32 v6, v9, v27 :: v_dual_mul_f32 v29, v8, v25
	v_dual_mul_f32 v32, v7, v19 :: v_dual_mul_f32 v33, v10, v21
	;; [unrolled: 1-line block ×5, first 2 shown]
	s_wait_dscnt 0x3
	v_dual_fmac_f32 v4, v11, v18 :: v_dual_fmac_f32 v5, v30, v24
	s_wait_dscnt 0x1
	v_dual_fmac_f32 v6, v13, v28 :: v_dual_fmac_f32 v33, v14, v22
	v_fma_f32 v15, v30, v23, -v15
	v_fma_f32 v11, v11, v17, -v16
	s_wait_dscnt 0x0
	v_dual_fmac_f32 v29, v1, v26 :: v_dual_fmac_f32 v32, v0, v20
	v_fma_f32 v1, v1, v25, -v8
	v_fma_f32 v8, v13, v27, -v9
	;; [unrolled: 1-line block ×4, first 2 shown]
	v_dual_sub_f32 v7, v4, v5 :: v_dual_add_f32 v14, v11, v15
	v_dual_sub_f32 v10, v6, v29 :: v_dual_sub_f32 v11, v11, v15
	v_sub_f32_e32 v13, v32, v33
	v_add_f32_e32 v4, v4, v5
	v_add_f32_e32 v5, v6, v29
	;; [unrolled: 1-line block ×4, first 2 shown]
	v_sub_f32_e32 v1, v8, v1
	v_dual_add_f32 v17, v0, v9 :: v_dual_sub_f32 v8, v7, v10
	v_sub_f32_e32 v0, v0, v9
	v_sub_f32_e32 v9, v10, v13
	v_add_f32_e32 v10, v10, v13
	v_sub_f32_e32 v23, v11, v1
	v_sub_f32_e32 v13, v13, v7
	v_sub_f32_e32 v24, v1, v0
	v_add_f32_e32 v1, v1, v0
	v_sub_f32_e32 v21, v5, v6
	v_dual_sub_f32 v15, v14, v16 :: v_dual_sub_f32 v18, v16, v17
	v_dual_add_f32 v19, v14, v17 :: v_dual_add_f32 v22, v4, v6
	v_sub_f32_e32 v20, v4, v5
	v_sub_f32_e32 v14, v17, v14
	;; [unrolled: 1-line block ×3, first 2 shown]
	s_delay_alu instid0(VALU_DEP_4)
	v_dual_sub_f32 v6, v0, v11 :: v_dual_add_f32 v5, v5, v22
	v_mul_f32_e32 v17, 0x3d64c772, v18
	v_dual_add_f32 v7, v7, v10 :: v_dual_mul_f32 v10, 0x3f4a47b2, v15
	v_dual_mul_f32 v9, 0x3f08b237, v9 :: v_dual_add_f32 v16, v16, v19
	v_dual_mul_f32 v18, 0x3f4a47b2, v20 :: v_dual_add_f32 v11, v11, v1
	v_mul_f32_e32 v22, 0xbf5ff5aa, v13
	s_delay_alu instid0(VALU_DEP_3)
	v_dual_add_f32 v0, v12, v5 :: v_dual_add_f32 v1, v31, v16
	v_fma_f32 v10, 0xbf3bfb3b, v14, -v10
	v_mul_f32_e32 v19, 0x3d64c772, v21
	v_mul_f32_e32 v21, 0x3f08b237, v24
	v_fma_f32 v14, 0x3f3bfb3b, v14, -v17
	v_fmamk_f32 v5, v5, 0xbf955555, v0
	v_mul_f32_e32 v24, 0xbf5ff5aa, v6
	v_fmamk_f32 v15, v15, 0x3f4a47b2, v17
	v_fma_f32 v17, 0xbf5ff5aa, v6, -v21
	v_fmamk_f32 v6, v16, 0xbf955555, v1
	v_fmamk_f32 v12, v23, 0xbeae86e6, v21
	v_fma_f32 v18, 0xbf3bfb3b, v4, -v18
	v_fmamk_f32 v25, v8, 0xbeae86e6, v9
	v_fma_f32 v8, 0x3eae86e6, v8, -v22
	v_fma_f32 v13, 0xbf5ff5aa, v13, -v9
	v_add_f32_e32 v10, v10, v6
	v_add_f32_e32 v18, v18, v5
	v_fmamk_f32 v20, v20, 0x3f4a47b2, v19
	v_fma_f32 v4, 0x3f3bfb3b, v4, -v19
	s_delay_alu instid0(VALU_DEP_2)
	v_dual_add_f32 v16, v20, v5 :: v_dual_add_f32 v15, v15, v6
	v_fmac_f32_e32 v13, 0xbee1c552, v7
	v_fmac_f32_e32 v8, 0xbee1c552, v7
	v_fmac_f32_e32 v12, 0xbee1c552, v11
	v_fmac_f32_e32 v25, 0xbee1c552, v7
	v_add_f32_e32 v19, v4, v5
	v_fma_f32 v22, 0x3eae86e6, v23, -v24
	v_add_f32_e32 v7, v8, v10
	s_delay_alu instid0(VALU_DEP_4) | instskip(NEXT) | instid1(VALU_DEP_3)
	v_dual_sub_f32 v4, v16, v12 :: v_dual_add_f32 v5, v25, v15
	v_fmac_f32_e32 v22, 0xbee1c552, v11
	v_fmac_f32_e32 v17, 0xbee1c552, v11
	v_dual_add_f32 v11, v14, v6 :: v_dual_add_f32 v14, v12, v16
	s_delay_alu instid0(VALU_DEP_1)
	v_sub_f32_e32 v9, v11, v13
	v_add_f32_e32 v11, v13, v11
	v_sub_f32_e32 v13, v10, v8
	v_add_f32_e32 v12, v22, v18
	v_sub_f32_e32 v10, v19, v17
	v_dual_sub_f32 v15, v15, v25 :: v_dual_add_f32 v8, v17, v19
	v_sub_f32_e32 v6, v18, v22
	s_clause 0x6
	global_store_b64 v[2:3], v[0:1], off
	global_store_b64 v[2:3], v[14:15], off offset:1400
	global_store_b64 v[2:3], v[12:13], off offset:2800
	;; [unrolled: 1-line block ×6, first 2 shown]
.LBB0_29:
	s_nop 0
	s_sendmsg sendmsg(MSG_DEALLOC_VGPRS)
	s_endpgm
	.section	.rodata,"a",@progbits
	.p2align	6, 0x0
	.amdhsa_kernel fft_rtc_back_len1225_factors_5_5_7_7_wgs_175_tpt_175_halfLds_sp_op_CI_CI_unitstride_sbrr_dirReg
		.amdhsa_group_segment_fixed_size 0
		.amdhsa_private_segment_fixed_size 0
		.amdhsa_kernarg_size 104
		.amdhsa_user_sgpr_count 2
		.amdhsa_user_sgpr_dispatch_ptr 0
		.amdhsa_user_sgpr_queue_ptr 0
		.amdhsa_user_sgpr_kernarg_segment_ptr 1
		.amdhsa_user_sgpr_dispatch_id 0
		.amdhsa_user_sgpr_private_segment_size 0
		.amdhsa_wavefront_size32 1
		.amdhsa_uses_dynamic_stack 0
		.amdhsa_enable_private_segment 0
		.amdhsa_system_sgpr_workgroup_id_x 1
		.amdhsa_system_sgpr_workgroup_id_y 0
		.amdhsa_system_sgpr_workgroup_id_z 0
		.amdhsa_system_sgpr_workgroup_info 0
		.amdhsa_system_vgpr_workitem_id 0
		.amdhsa_next_free_vgpr 53
		.amdhsa_next_free_sgpr 39
		.amdhsa_reserve_vcc 1
		.amdhsa_float_round_mode_32 0
		.amdhsa_float_round_mode_16_64 0
		.amdhsa_float_denorm_mode_32 3
		.amdhsa_float_denorm_mode_16_64 3
		.amdhsa_fp16_overflow 0
		.amdhsa_workgroup_processor_mode 1
		.amdhsa_memory_ordered 1
		.amdhsa_forward_progress 0
		.amdhsa_round_robin_scheduling 0
		.amdhsa_exception_fp_ieee_invalid_op 0
		.amdhsa_exception_fp_denorm_src 0
		.amdhsa_exception_fp_ieee_div_zero 0
		.amdhsa_exception_fp_ieee_overflow 0
		.amdhsa_exception_fp_ieee_underflow 0
		.amdhsa_exception_fp_ieee_inexact 0
		.amdhsa_exception_int_div_zero 0
	.end_amdhsa_kernel
	.text
.Lfunc_end0:
	.size	fft_rtc_back_len1225_factors_5_5_7_7_wgs_175_tpt_175_halfLds_sp_op_CI_CI_unitstride_sbrr_dirReg, .Lfunc_end0-fft_rtc_back_len1225_factors_5_5_7_7_wgs_175_tpt_175_halfLds_sp_op_CI_CI_unitstride_sbrr_dirReg
                                        ; -- End function
	.section	.AMDGPU.csdata,"",@progbits
; Kernel info:
; codeLenInByte = 6440
; NumSgprs: 41
; NumVgprs: 53
; ScratchSize: 0
; MemoryBound: 0
; FloatMode: 240
; IeeeMode: 1
; LDSByteSize: 0 bytes/workgroup (compile time only)
; SGPRBlocks: 5
; VGPRBlocks: 6
; NumSGPRsForWavesPerEU: 41
; NumVGPRsForWavesPerEU: 53
; Occupancy: 15
; WaveLimiterHint : 1
; COMPUTE_PGM_RSRC2:SCRATCH_EN: 0
; COMPUTE_PGM_RSRC2:USER_SGPR: 2
; COMPUTE_PGM_RSRC2:TRAP_HANDLER: 0
; COMPUTE_PGM_RSRC2:TGID_X_EN: 1
; COMPUTE_PGM_RSRC2:TGID_Y_EN: 0
; COMPUTE_PGM_RSRC2:TGID_Z_EN: 0
; COMPUTE_PGM_RSRC2:TIDIG_COMP_CNT: 0
	.text
	.p2alignl 7, 3214868480
	.fill 96, 4, 3214868480
	.type	__hip_cuid_ed7cc1ea93769831,@object ; @__hip_cuid_ed7cc1ea93769831
	.section	.bss,"aw",@nobits
	.globl	__hip_cuid_ed7cc1ea93769831
__hip_cuid_ed7cc1ea93769831:
	.byte	0                               ; 0x0
	.size	__hip_cuid_ed7cc1ea93769831, 1

	.ident	"AMD clang version 19.0.0git (https://github.com/RadeonOpenCompute/llvm-project roc-6.4.0 25133 c7fe45cf4b819c5991fe208aaa96edf142730f1d)"
	.section	".note.GNU-stack","",@progbits
	.addrsig
	.addrsig_sym __hip_cuid_ed7cc1ea93769831
	.amdgpu_metadata
---
amdhsa.kernels:
  - .args:
      - .actual_access:  read_only
        .address_space:  global
        .offset:         0
        .size:           8
        .value_kind:     global_buffer
      - .offset:         8
        .size:           8
        .value_kind:     by_value
      - .actual_access:  read_only
        .address_space:  global
        .offset:         16
        .size:           8
        .value_kind:     global_buffer
      - .actual_access:  read_only
        .address_space:  global
        .offset:         24
        .size:           8
        .value_kind:     global_buffer
      - .actual_access:  read_only
        .address_space:  global
        .offset:         32
        .size:           8
        .value_kind:     global_buffer
      - .offset:         40
        .size:           8
        .value_kind:     by_value
      - .actual_access:  read_only
        .address_space:  global
        .offset:         48
        .size:           8
        .value_kind:     global_buffer
      - .actual_access:  read_only
        .address_space:  global
        .offset:         56
        .size:           8
        .value_kind:     global_buffer
      - .offset:         64
        .size:           4
        .value_kind:     by_value
      - .actual_access:  read_only
        .address_space:  global
        .offset:         72
        .size:           8
        .value_kind:     global_buffer
      - .actual_access:  read_only
        .address_space:  global
        .offset:         80
        .size:           8
        .value_kind:     global_buffer
      - .actual_access:  read_only
        .address_space:  global
        .offset:         88
        .size:           8
        .value_kind:     global_buffer
      - .actual_access:  write_only
        .address_space:  global
        .offset:         96
        .size:           8
        .value_kind:     global_buffer
    .group_segment_fixed_size: 0
    .kernarg_segment_align: 8
    .kernarg_segment_size: 104
    .language:       OpenCL C
    .language_version:
      - 2
      - 0
    .max_flat_workgroup_size: 175
    .name:           fft_rtc_back_len1225_factors_5_5_7_7_wgs_175_tpt_175_halfLds_sp_op_CI_CI_unitstride_sbrr_dirReg
    .private_segment_fixed_size: 0
    .sgpr_count:     41
    .sgpr_spill_count: 0
    .symbol:         fft_rtc_back_len1225_factors_5_5_7_7_wgs_175_tpt_175_halfLds_sp_op_CI_CI_unitstride_sbrr_dirReg.kd
    .uniform_work_group_size: 1
    .uses_dynamic_stack: false
    .vgpr_count:     53
    .vgpr_spill_count: 0
    .wavefront_size: 32
    .workgroup_processor_mode: 1
amdhsa.target:   amdgcn-amd-amdhsa--gfx1201
amdhsa.version:
  - 1
  - 2
...

	.end_amdgpu_metadata
